;; amdgpu-corpus repo=ROCm/rocFFT kind=compiled arch=gfx1030 opt=O3
	.text
	.amdgcn_target "amdgcn-amd-amdhsa--gfx1030"
	.amdhsa_code_object_version 6
	.protected	fft_rtc_back_len176_factors_11_16_wgs_64_tpt_16_halfLds_sp_ip_CI_unitstride_sbrr_dirReg ; -- Begin function fft_rtc_back_len176_factors_11_16_wgs_64_tpt_16_halfLds_sp_ip_CI_unitstride_sbrr_dirReg
	.globl	fft_rtc_back_len176_factors_11_16_wgs_64_tpt_16_halfLds_sp_ip_CI_unitstride_sbrr_dirReg
	.p2align	8
	.type	fft_rtc_back_len176_factors_11_16_wgs_64_tpt_16_halfLds_sp_ip_CI_unitstride_sbrr_dirReg,@function
fft_rtc_back_len176_factors_11_16_wgs_64_tpt_16_halfLds_sp_ip_CI_unitstride_sbrr_dirReg: ; @fft_rtc_back_len176_factors_11_16_wgs_64_tpt_16_halfLds_sp_ip_CI_unitstride_sbrr_dirReg
; %bb.0:
	s_clause 0x2
	s_load_dwordx4 s[8:11], s[4:5], 0x0
	s_load_dwordx2 s[2:3], s[4:5], 0x50
	s_load_dwordx2 s[12:13], s[4:5], 0x18
	v_lshrrev_b32_e32 v9, 4, v0
	v_mov_b32_e32 v3, 0
	v_mov_b32_e32 v1, 0
	;; [unrolled: 1-line block ×3, first 2 shown]
	v_lshl_or_b32 v5, s6, 2, v9
	v_mov_b32_e32 v6, v3
	s_waitcnt lgkmcnt(0)
	v_cmp_lt_u64_e64 s0, s[10:11], 2
	s_and_b32 vcc_lo, exec_lo, s0
	s_cbranch_vccnz .LBB0_8
; %bb.1:
	s_load_dwordx2 s[0:1], s[4:5], 0x10
	v_mov_b32_e32 v1, 0
	s_add_u32 s6, s12, 8
	v_mov_b32_e32 v2, 0
	s_addc_u32 s7, s13, 0
	s_mov_b64 s[16:17], 1
	s_waitcnt lgkmcnt(0)
	s_add_u32 s14, s0, 8
	s_addc_u32 s15, s1, 0
.LBB0_2:                                ; =>This Inner Loop Header: Depth=1
	s_load_dwordx2 s[18:19], s[14:15], 0x0
                                        ; implicit-def: $vgpr7_vgpr8
	s_mov_b32 s0, exec_lo
	s_waitcnt lgkmcnt(0)
	v_or_b32_e32 v4, s19, v6
	v_cmpx_ne_u64_e32 0, v[3:4]
	s_xor_b32 s1, exec_lo, s0
	s_cbranch_execz .LBB0_4
; %bb.3:                                ;   in Loop: Header=BB0_2 Depth=1
	v_cvt_f32_u32_e32 v4, s18
	v_cvt_f32_u32_e32 v7, s19
	s_sub_u32 s0, 0, s18
	s_subb_u32 s20, 0, s19
	v_fmac_f32_e32 v4, 0x4f800000, v7
	v_rcp_f32_e32 v4, v4
	v_mul_f32_e32 v4, 0x5f7ffffc, v4
	v_mul_f32_e32 v7, 0x2f800000, v4
	v_trunc_f32_e32 v7, v7
	v_fmac_f32_e32 v4, 0xcf800000, v7
	v_cvt_u32_f32_e32 v7, v7
	v_cvt_u32_f32_e32 v4, v4
	v_mul_lo_u32 v8, s0, v7
	v_mul_hi_u32 v10, s0, v4
	v_mul_lo_u32 v11, s20, v4
	v_add_nc_u32_e32 v8, v10, v8
	v_mul_lo_u32 v10, s0, v4
	v_add_nc_u32_e32 v8, v8, v11
	v_mul_hi_u32 v11, v4, v10
	v_mul_lo_u32 v12, v4, v8
	v_mul_hi_u32 v13, v4, v8
	v_mul_hi_u32 v14, v7, v10
	v_mul_lo_u32 v10, v7, v10
	v_mul_hi_u32 v15, v7, v8
	v_mul_lo_u32 v8, v7, v8
	v_add_co_u32 v11, vcc_lo, v11, v12
	v_add_co_ci_u32_e32 v12, vcc_lo, 0, v13, vcc_lo
	v_add_co_u32 v10, vcc_lo, v11, v10
	v_add_co_ci_u32_e32 v10, vcc_lo, v12, v14, vcc_lo
	v_add_co_ci_u32_e32 v11, vcc_lo, 0, v15, vcc_lo
	v_add_co_u32 v8, vcc_lo, v10, v8
	v_add_co_ci_u32_e32 v10, vcc_lo, 0, v11, vcc_lo
	v_add_co_u32 v4, vcc_lo, v4, v8
	v_add_co_ci_u32_e32 v7, vcc_lo, v7, v10, vcc_lo
	v_mul_hi_u32 v8, s0, v4
	v_mul_lo_u32 v11, s20, v4
	v_mul_lo_u32 v10, s0, v7
	v_add_nc_u32_e32 v8, v8, v10
	v_mul_lo_u32 v10, s0, v4
	v_add_nc_u32_e32 v8, v8, v11
	v_mul_hi_u32 v11, v4, v10
	v_mul_lo_u32 v12, v4, v8
	v_mul_hi_u32 v13, v4, v8
	v_mul_hi_u32 v14, v7, v10
	v_mul_lo_u32 v10, v7, v10
	v_mul_hi_u32 v15, v7, v8
	v_mul_lo_u32 v8, v7, v8
	v_add_co_u32 v11, vcc_lo, v11, v12
	v_add_co_ci_u32_e32 v12, vcc_lo, 0, v13, vcc_lo
	v_add_co_u32 v10, vcc_lo, v11, v10
	v_add_co_ci_u32_e32 v10, vcc_lo, v12, v14, vcc_lo
	v_add_co_ci_u32_e32 v11, vcc_lo, 0, v15, vcc_lo
	v_add_co_u32 v8, vcc_lo, v10, v8
	v_add_co_ci_u32_e32 v10, vcc_lo, 0, v11, vcc_lo
	v_add_co_u32 v4, vcc_lo, v4, v8
	v_add_co_ci_u32_e32 v12, vcc_lo, v7, v10, vcc_lo
	v_mul_hi_u32 v14, v5, v4
	v_mad_u64_u32 v[10:11], null, v6, v4, 0
	v_mad_u64_u32 v[7:8], null, v5, v12, 0
	;; [unrolled: 1-line block ×3, first 2 shown]
	v_add_co_u32 v4, vcc_lo, v14, v7
	v_add_co_ci_u32_e32 v7, vcc_lo, 0, v8, vcc_lo
	v_add_co_u32 v4, vcc_lo, v4, v10
	v_add_co_ci_u32_e32 v4, vcc_lo, v7, v11, vcc_lo
	v_add_co_ci_u32_e32 v7, vcc_lo, 0, v13, vcc_lo
	v_add_co_u32 v4, vcc_lo, v4, v12
	v_add_co_ci_u32_e32 v10, vcc_lo, 0, v7, vcc_lo
	v_mul_lo_u32 v11, s19, v4
	v_mad_u64_u32 v[7:8], null, s18, v4, 0
	v_mul_lo_u32 v12, s18, v10
	v_sub_co_u32 v7, vcc_lo, v5, v7
	v_add3_u32 v8, v8, v12, v11
	v_sub_nc_u32_e32 v11, v6, v8
	v_subrev_co_ci_u32_e64 v11, s0, s19, v11, vcc_lo
	v_add_co_u32 v12, s0, v4, 2
	v_add_co_ci_u32_e64 v13, s0, 0, v10, s0
	v_sub_co_u32 v14, s0, v7, s18
	v_sub_co_ci_u32_e32 v8, vcc_lo, v6, v8, vcc_lo
	v_subrev_co_ci_u32_e64 v11, s0, 0, v11, s0
	v_cmp_le_u32_e32 vcc_lo, s18, v14
	v_cmp_eq_u32_e64 s0, s19, v8
	v_cndmask_b32_e64 v14, 0, -1, vcc_lo
	v_cmp_le_u32_e32 vcc_lo, s19, v11
	v_cndmask_b32_e64 v15, 0, -1, vcc_lo
	v_cmp_le_u32_e32 vcc_lo, s18, v7
	;; [unrolled: 2-line block ×3, first 2 shown]
	v_cndmask_b32_e64 v16, 0, -1, vcc_lo
	v_cmp_eq_u32_e32 vcc_lo, s19, v11
	v_cndmask_b32_e64 v7, v16, v7, s0
	v_cndmask_b32_e32 v11, v15, v14, vcc_lo
	v_add_co_u32 v14, vcc_lo, v4, 1
	v_add_co_ci_u32_e32 v15, vcc_lo, 0, v10, vcc_lo
	v_cmp_ne_u32_e32 vcc_lo, 0, v11
	v_cndmask_b32_e32 v8, v15, v13, vcc_lo
	v_cndmask_b32_e32 v11, v14, v12, vcc_lo
	v_cmp_ne_u32_e32 vcc_lo, 0, v7
	v_cndmask_b32_e32 v8, v10, v8, vcc_lo
	v_cndmask_b32_e32 v7, v4, v11, vcc_lo
.LBB0_4:                                ;   in Loop: Header=BB0_2 Depth=1
	s_andn2_saveexec_b32 s0, s1
	s_cbranch_execz .LBB0_6
; %bb.5:                                ;   in Loop: Header=BB0_2 Depth=1
	v_cvt_f32_u32_e32 v4, s18
	s_sub_i32 s1, 0, s18
	v_rcp_iflag_f32_e32 v4, v4
	v_mul_f32_e32 v4, 0x4f7ffffe, v4
	v_cvt_u32_f32_e32 v4, v4
	v_mul_lo_u32 v7, s1, v4
	v_mul_hi_u32 v7, v4, v7
	v_add_nc_u32_e32 v4, v4, v7
	v_mul_hi_u32 v4, v5, v4
	v_mul_lo_u32 v7, v4, s18
	v_add_nc_u32_e32 v8, 1, v4
	v_sub_nc_u32_e32 v7, v5, v7
	v_subrev_nc_u32_e32 v10, s18, v7
	v_cmp_le_u32_e32 vcc_lo, s18, v7
	v_cndmask_b32_e32 v7, v7, v10, vcc_lo
	v_cndmask_b32_e32 v4, v4, v8, vcc_lo
	v_cmp_le_u32_e32 vcc_lo, s18, v7
	v_add_nc_u32_e32 v8, 1, v4
	v_cndmask_b32_e32 v7, v4, v8, vcc_lo
	v_mov_b32_e32 v8, v3
.LBB0_6:                                ;   in Loop: Header=BB0_2 Depth=1
	s_or_b32 exec_lo, exec_lo, s0
	s_load_dwordx2 s[0:1], s[6:7], 0x0
	v_mul_lo_u32 v4, v8, s18
	v_mul_lo_u32 v12, v7, s19
	v_mad_u64_u32 v[10:11], null, v7, s18, 0
	s_add_u32 s16, s16, 1
	s_addc_u32 s17, s17, 0
	s_add_u32 s6, s6, 8
	s_addc_u32 s7, s7, 0
	;; [unrolled: 2-line block ×3, first 2 shown]
	v_add3_u32 v4, v11, v12, v4
	v_sub_co_u32 v5, vcc_lo, v5, v10
	v_sub_co_ci_u32_e32 v4, vcc_lo, v6, v4, vcc_lo
	s_waitcnt lgkmcnt(0)
	v_mul_lo_u32 v6, s1, v5
	v_mul_lo_u32 v4, s0, v4
	v_mad_u64_u32 v[1:2], null, s0, v5, v[1:2]
	v_cmp_ge_u64_e64 s0, s[16:17], s[10:11]
	s_and_b32 vcc_lo, exec_lo, s0
	v_add3_u32 v2, v6, v2, v4
	s_cbranch_vccnz .LBB0_9
; %bb.7:                                ;   in Loop: Header=BB0_2 Depth=1
	v_mov_b32_e32 v5, v7
	v_mov_b32_e32 v6, v8
	s_branch .LBB0_2
.LBB0_8:
	v_mov_b32_e32 v8, v6
	v_mov_b32_e32 v7, v5
.LBB0_9:
	s_lshl_b64 s[0:1], s[10:11], 3
	v_and_b32_e32 v39, 15, v0
	s_add_u32 s0, s12, s0
	s_addc_u32 s1, s13, s1
	v_mov_b32_e32 v23, 0
	s_load_dwordx2 s[0:1], s[0:1], 0x0
	s_load_dwordx2 s[4:5], s[4:5], 0x20
	v_mov_b32_e32 v24, 0
	v_lshlrev_b32_e32 v37, 3, v39
                                        ; implicit-def: $vgpr36
                                        ; implicit-def: $vgpr34
                                        ; implicit-def: $vgpr21
                                        ; implicit-def: $vgpr17
                                        ; implicit-def: $vgpr13
                                        ; implicit-def: $vgpr15
                                        ; implicit-def: $vgpr19
                                        ; implicit-def: $vgpr26
                                        ; implicit-def: $vgpr30
                                        ; implicit-def: $vgpr32
	s_waitcnt lgkmcnt(0)
	v_mul_lo_u32 v3, s0, v8
	v_mul_lo_u32 v4, s1, v7
	v_mad_u64_u32 v[1:2], null, s0, v7, v[1:2]
	v_cmp_gt_u64_e32 vcc_lo, s[4:5], v[7:8]
	v_add3_u32 v2, v4, v2, v3
	v_lshlrev_b64 v[0:1], 3, v[1:2]
	s_and_saveexec_b32 s1, vcc_lo
; %bb.10:
	v_add_co_u32 v2, s0, s2, v0
	v_add_co_ci_u32_e64 v3, s0, s3, v1, s0
	v_add_co_u32 v2, s0, v2, v37
	v_add_co_ci_u32_e64 v3, s0, 0, v3, s0
	s_clause 0xa
	global_load_dwordx2 v[23:24], v[2:3], off
	global_load_dwordx2 v[35:36], v[2:3], off offset:128
	global_load_dwordx2 v[33:34], v[2:3], off offset:256
	;; [unrolled: 1-line block ×10, first 2 shown]
; %bb.11:
	s_or_b32 exec_lo, exec_lo, s1
	s_waitcnt vmcnt(9)
	v_add_f32_e32 v2, v35, v23
	s_waitcnt vmcnt(0)
	v_sub_f32_e32 v3, v36, v32
	v_add_f32_e32 v4, v35, v31
	v_sub_f32_e32 v6, v34, v30
	v_mul_u32_u24_e32 v10, 0xb0, v9
	v_add_f32_e32 v2, v33, v2
	v_mul_f32_e32 v7, 0xbf0a6770, v3
	v_add_f32_e32 v5, v33, v29
	v_mul_f32_e32 v8, 0xbf68dda4, v3
	v_mul_f32_e32 v9, 0xbf7d64f0, v3
	v_add_f32_e32 v2, v20, v2
	v_mul_f32_e32 v11, 0xbf4178ce, v3
	v_mul_f32_e32 v3, 0xbe903f40, v3
	;; [unrolled: 1-line block ×3, first 2 shown]
	v_fmamk_f32 v38, v4, 0x3f575c64, v7
	v_add_f32_e32 v2, v16, v2
	v_mul_f32_e32 v27, 0xbf4178ce, v6
	v_mul_f32_e32 v28, 0x3e903f40, v6
	v_fma_f32 v7, 0x3f575c64, v4, -v7
	v_fmamk_f32 v40, v4, 0x3ed4b147, v8
	v_add_f32_e32 v2, v12, v2
	v_fma_f32 v8, 0x3ed4b147, v4, -v8
	v_fmamk_f32 v41, v4, 0xbe11bafb, v9
	v_fma_f32 v9, 0xbe11bafb, v4, -v9
	v_fmamk_f32 v42, v4, 0xbf27a4f4, v11
	v_add_f32_e32 v2, v14, v2
	v_fma_f32 v11, 0xbf27a4f4, v4, -v11
	v_fmamk_f32 v43, v4, 0xbf75a155, v3
	v_fma_f32 v3, 0xbf75a155, v4, -v3
	v_fmamk_f32 v4, v5, 0x3ed4b147, v22
	v_add_f32_e32 v2, v18, v2
	v_add_f32_e32 v45, v38, v23
	v_fma_f32 v22, 0x3ed4b147, v5, -v22
	v_fmamk_f32 v44, v5, 0xbf27a4f4, v27
	v_add_f32_e32 v7, v7, v23
	v_add_f32_e32 v2, v25, v2
	;; [unrolled: 1-line block ×8, first 2 shown]
	v_fmamk_f32 v22, v5, 0xbf75a155, v28
	v_add_f32_e32 v42, v42, v23
	v_add_f32_e32 v11, v11, v23
	;; [unrolled: 1-line block ×4, first 2 shown]
	v_fma_f32 v4, 0xbf27a4f4, v5, -v27
	v_fma_f32 v27, 0xbf75a155, v5, -v28
	v_add_f32_e32 v43, v43, v23
	v_add_f32_e32 v3, v3, v23
	;; [unrolled: 1-line block ×4, first 2 shown]
	v_mul_f32_e32 v8, 0x3f7d64f0, v6
	v_mul_f32_e32 v6, 0x3f0a6770, v6
	v_add_f32_e32 v9, v27, v9
	v_sub_f32_e32 v27, v21, v26
	v_add_f32_e32 v22, v22, v41
	v_fmamk_f32 v28, v5, 0xbe11bafb, v8
	v_fma_f32 v8, 0xbe11bafb, v5, -v8
	v_fmamk_f32 v40, v5, 0x3f575c64, v6
	v_add_f32_e32 v41, v20, v25
	v_mul_f32_e32 v44, 0xbf7d64f0, v27
	v_fma_f32 v5, 0x3f575c64, v5, -v6
	v_add_f32_e32 v6, v8, v11
	v_add_f32_e32 v8, v40, v43
	v_mul_f32_e32 v40, 0x3e903f40, v27
	v_fmamk_f32 v11, v41, 0xbe11bafb, v44
	v_add_f32_e32 v28, v28, v42
	v_add_f32_e32 v3, v5, v3
	v_fma_f32 v5, 0xbe11bafb, v41, -v44
	v_mul_f32_e32 v42, 0x3f68dda4, v27
	v_add_f32_e32 v2, v11, v2
	v_fmamk_f32 v11, v41, 0xbf75a155, v40
	v_fma_f32 v40, 0xbf75a155, v41, -v40
	v_add_f32_e32 v5, v5, v7
	v_fmamk_f32 v7, v41, 0x3ed4b147, v42
	v_fma_f32 v42, 0x3ed4b147, v41, -v42
	v_add_f32_e32 v11, v11, v23
	v_mul_f32_e32 v23, 0xbf0a6770, v27
	v_add_f32_e32 v4, v40, v4
	v_add_f32_e32 v7, v7, v22
	v_sub_f32_e32 v22, v17, v19
	v_mul_f32_e32 v27, 0xbf4178ce, v27
	v_fmamk_f32 v40, v41, 0x3f575c64, v23
	v_fma_f32 v23, 0x3f575c64, v41, -v23
	v_add_f32_e32 v9, v42, v9
	v_add_f32_e32 v42, v16, v18
	v_mul_f32_e32 v43, 0xbf4178ce, v22
	v_fmamk_f32 v44, v41, 0xbf27a4f4, v27
	v_add_f32_e32 v6, v23, v6
	v_fma_f32 v23, 0xbf27a4f4, v41, -v27
	v_add_f32_e32 v28, v40, v28
	v_fmamk_f32 v27, v42, 0xbf27a4f4, v43
	v_mul_f32_e32 v40, 0x3f7d64f0, v22
	v_fma_f32 v41, 0xbf27a4f4, v42, -v43
	v_add_f32_e32 v3, v23, v3
	v_mul_f32_e32 v23, 0xbf0a6770, v22
	v_add_f32_e32 v2, v27, v2
	v_fmamk_f32 v27, v42, 0xbe11bafb, v40
	v_add_f32_e32 v5, v41, v5
	v_fma_f32 v40, 0xbe11bafb, v42, -v40
	v_mul_f32_e32 v41, 0xbe903f40, v22
	v_fmamk_f32 v43, v42, 0x3f575c64, v23
	v_add_f32_e32 v11, v27, v11
	v_fma_f32 v23, 0x3f575c64, v42, -v23
	v_add_f32_e32 v4, v40, v4
	v_fmamk_f32 v27, v42, 0xbf75a155, v41
	v_add_f32_e32 v40, v43, v7
	v_mul_f32_e32 v7, 0x3f68dda4, v22
	v_sub_f32_e32 v22, v13, v15
	v_add_f32_e32 v8, v44, v8
	v_add_f32_e32 v9, v23, v9
	;; [unrolled: 1-line block ×3, first 2 shown]
	v_fma_f32 v27, 0xbf75a155, v42, -v41
	v_fmamk_f32 v28, v42, 0x3ed4b147, v7
	v_add_f32_e32 v41, v12, v14
	v_mul_f32_e32 v43, 0xbe903f40, v22
	v_fma_f32 v7, 0x3ed4b147, v42, -v7
	v_add_f32_e32 v27, v27, v6
	v_add_f32_e32 v28, v28, v8
	v_mul_f32_e32 v8, 0x3f0a6770, v22
	v_fmamk_f32 v6, v41, 0xbf75a155, v43
	v_mul_f32_e32 v44, 0xbf4178ce, v22
	v_add_f32_e32 v42, v7, v3
	v_fma_f32 v3, 0xbf75a155, v41, -v43
	v_fmamk_f32 v7, v41, 0x3f575c64, v8
	v_add_f32_e32 v6, v6, v2
	v_fma_f32 v2, 0x3f575c64, v41, -v8
	v_fmamk_f32 v8, v41, 0xbf27a4f4, v44
	v_add_f32_e32 v3, v3, v5
	v_mul_f32_e32 v5, 0x3f68dda4, v22
	v_add_f32_e32 v7, v7, v11
	v_add_f32_e32 v2, v2, v4
	;; [unrolled: 1-line block ×3, first 2 shown]
	v_mul_f32_e32 v8, 0xbf7d64f0, v22
	v_fma_f32 v40, 0xbf27a4f4, v41, -v44
	v_fmamk_f32 v22, v41, 0x3ed4b147, v5
	v_mad_u32_u24 v11, v39, 44, 0
	v_fma_f32 v44, 0x3ed4b147, v41, -v5
	v_fmamk_f32 v45, v41, 0xbe11bafb, v8
	v_fma_f32 v41, 0xbe11bafb, v41, -v8
	v_add_f32_e32 v5, v22, v23
	v_lshl_add_u32 v43, v10, 2, v11
	v_add_f32_e32 v8, v44, v27
	v_add_f32_e32 v22, v45, v28
	;; [unrolled: 1-line block ×4, first 2 shown]
	v_cmp_gt_u32_e64 s0, 11, v39
	v_lshlrev_b32_e32 v41, 2, v10
	v_lshlrev_b32_e32 v42, 2, v39
	ds_write2_b32 v43, v38, v6 offset1:1
	ds_write2_b32 v43, v7, v4 offset0:2 offset1:3
	ds_write2_b32 v43, v5, v22 offset0:4 offset1:5
	;; [unrolled: 1-line block ×4, first 2 shown]
	ds_write_b32 v43, v3 offset:40
	s_waitcnt lgkmcnt(0)
	s_barrier
	buffer_gl0_inv
                                        ; implicit-def: $vgpr10
                                        ; implicit-def: $vgpr27
                                        ; implicit-def: $vgpr40
	s_and_saveexec_b32 s1, s0
	s_cbranch_execz .LBB0_13
; %bb.12:
	v_mul_i32_i24_e32 v2, 0xffffffd8, v39
	v_add3_u32 v38, 0, v41, v42
	v_add3_u32 v40, v11, v2, v41
	ds_read2_b32 v[6:7], v40 offset0:11 offset1:22
	ds_read2_b32 v[4:5], v40 offset0:33 offset1:44
	;; [unrolled: 1-line block ×7, first 2 shown]
	ds_read_b32 v38, v38
	ds_read_b32 v40, v40 offset:660
.LBB0_13:
	s_or_b32 exec_lo, exec_lo, s1
	v_add_f32_e32 v44, v36, v24
	v_sub_f32_e32 v29, v33, v29
	v_sub_f32_e32 v31, v35, v31
	v_add_f32_e32 v35, v36, v32
	v_add_f32_e32 v36, v34, v30
	;; [unrolled: 1-line block ×3, first 2 shown]
	v_mul_f32_e32 v47, 0xbf68dda4, v29
	v_mul_f32_e32 v34, 0xbf0a6770, v31
	;; [unrolled: 1-line block ×4, first 2 shown]
	v_add_f32_e32 v33, v21, v33
	v_mul_f32_e32 v46, 0xbf4178ce, v31
	v_mul_f32_e32 v31, 0xbe903f40, v31
	v_fma_f32 v50, 0x3f575c64, v35, -v34
	v_fmac_f32_e32 v34, 0x3f575c64, v35
	v_add_f32_e32 v33, v17, v33
	v_mul_f32_e32 v48, 0xbf4178ce, v29
	v_fma_f32 v51, 0x3ed4b147, v35, -v44
	v_fmac_f32_e32 v44, 0x3ed4b147, v35
	v_fma_f32 v52, 0xbe11bafb, v35, -v45
	v_add_f32_e32 v33, v13, v33
	v_fmac_f32_e32 v45, 0xbe11bafb, v35
	v_fma_f32 v53, 0xbf27a4f4, v35, -v46
	v_fmac_f32_e32 v46, 0xbf27a4f4, v35
	v_fma_f32 v54, 0xbf75a155, v35, -v31
	v_add_f32_e32 v33, v15, v33
	v_fmac_f32_e32 v31, 0xbf75a155, v35
	v_fma_f32 v35, 0x3ed4b147, v36, -v47
	v_fmac_f32_e32 v47, 0x3ed4b147, v36
	v_add_f32_e32 v34, v34, v24
	v_add_f32_e32 v33, v19, v33
	v_mul_f32_e32 v49, 0x3e903f40, v29
	v_fma_f32 v55, 0xbf27a4f4, v36, -v48
	v_add_f32_e32 v50, v50, v24
	v_add_f32_e32 v51, v51, v24
	;; [unrolled: 1-line block ×11, first 2 shown]
	v_fmac_f32_e32 v48, 0xbf27a4f4, v36
	v_add_f32_e32 v31, v32, v30
	v_add_f32_e32 v30, v47, v34
	v_mul_f32_e32 v47, 0x3f7d64f0, v29
	v_mul_f32_e32 v29, 0x3f0a6770, v29
	v_sub_f32_e32 v20, v20, v25
	v_add_f32_e32 v44, v48, v44
	v_add_f32_e32 v21, v21, v26
	v_fma_f32 v25, 0xbe11bafb, v36, -v47
	v_fmac_f32_e32 v47, 0xbe11bafb, v36
	v_fma_f32 v48, 0x3f575c64, v36, -v29
	v_mul_f32_e32 v26, 0xbf7d64f0, v20
	v_add_f32_e32 v35, v35, v50
	v_fma_f32 v32, 0xbf75a155, v36, -v49
	v_fmac_f32_e32 v49, 0xbf75a155, v36
	v_fmac_f32_e32 v29, 0x3f575c64, v36
	v_add_f32_e32 v33, v47, v33
	v_add_f32_e32 v36, v48, v46
	v_fma_f32 v46, 0xbe11bafb, v21, -v26
	v_mul_f32_e32 v47, 0x3e903f40, v20
	v_add_f32_e32 v34, v55, v51
	v_add_f32_e32 v24, v29, v24
	v_fmac_f32_e32 v26, 0xbe11bafb, v21
	v_add_f32_e32 v35, v46, v35
	v_fma_f32 v46, 0xbf75a155, v21, -v47
	v_mul_f32_e32 v29, 0x3f68dda4, v20
	v_sub_f32_e32 v16, v16, v18
	v_add_f32_e32 v32, v32, v52
	v_add_f32_e32 v25, v25, v53
	;; [unrolled: 1-line block ×3, first 2 shown]
	v_mul_f32_e32 v46, 0xbf0a6770, v20
	v_add_f32_e32 v26, v26, v30
	v_fma_f32 v30, 0x3ed4b147, v21, -v29
	v_mul_f32_e32 v18, 0xbf4178ce, v20
	v_add_f32_e32 v17, v17, v19
	v_fma_f32 v20, 0x3f575c64, v21, -v46
	v_fmac_f32_e32 v46, 0x3f575c64, v21
	v_mul_f32_e32 v19, 0xbf4178ce, v16
	v_fmac_f32_e32 v47, 0xbf75a155, v21
	v_fmac_f32_e32 v29, 0x3ed4b147, v21
	v_add_f32_e32 v30, v30, v32
	v_fma_f32 v32, 0xbf27a4f4, v21, -v18
	v_add_f32_e32 v20, v20, v25
	v_add_f32_e32 v25, v46, v33
	v_fmac_f32_e32 v18, 0xbf27a4f4, v21
	v_fma_f32 v21, 0xbf27a4f4, v17, -v19
	v_mul_f32_e32 v33, 0x3f7d64f0, v16
	v_fmac_f32_e32 v19, 0xbf27a4f4, v17
	v_add_f32_e32 v45, v49, v45
	v_add_f32_e32 v18, v18, v24
	;; [unrolled: 1-line block ×3, first 2 shown]
	v_mul_f32_e32 v24, 0xbf0a6770, v16
	v_fma_f32 v35, 0xbe11bafb, v17, -v33
	v_add_f32_e32 v19, v19, v26
	v_mul_f32_e32 v26, 0xbe903f40, v16
	v_mul_f32_e32 v16, 0x3f68dda4, v16
	v_add_f32_e32 v32, v32, v36
	v_add_f32_e32 v34, v35, v34
	v_sub_f32_e32 v12, v12, v14
	v_fma_f32 v35, 0xbf75a155, v17, -v26
	v_fmac_f32_e32 v26, 0xbf75a155, v17
	v_fma_f32 v14, 0x3ed4b147, v17, -v16
	v_add_f32_e32 v29, v29, v45
	v_fma_f32 v36, 0x3f575c64, v17, -v24
	v_fmac_f32_e32 v24, 0x3f575c64, v17
	v_add_f32_e32 v13, v13, v15
	v_mul_f32_e32 v15, 0xbe903f40, v12
	v_fmac_f32_e32 v16, 0x3ed4b147, v17
	v_add_f32_e32 v25, v26, v25
	v_add_f32_e32 v26, v14, v32
	v_mul_f32_e32 v14, 0x3f0a6770, v12
	v_add_f32_e32 v44, v47, v44
	v_fmac_f32_e32 v33, 0xbe11bafb, v17
	v_add_f32_e32 v24, v24, v29
	v_fma_f32 v17, 0xbf75a155, v13, -v15
	v_add_f32_e32 v29, v16, v18
	v_fmac_f32_e32 v15, 0xbf75a155, v13
	v_mul_f32_e32 v18, 0xbf4178ce, v12
	v_fma_f32 v32, 0x3f575c64, v13, -v14
	v_add_f32_e32 v33, v33, v44
	v_add_f32_e32 v30, v36, v30
	;; [unrolled: 1-line block ×3, first 2 shown]
	v_fmac_f32_e32 v14, 0x3f575c64, v13
	v_add_f32_e32 v15, v15, v19
	v_fma_f32 v19, 0xbf27a4f4, v13, -v18
	v_add_f32_e32 v17, v32, v34
	v_mul_f32_e32 v21, 0x3f68dda4, v12
	v_mul_f32_e32 v32, 0xbf7d64f0, v12
	v_add_f32_e32 v20, v35, v20
	v_add_f32_e32 v14, v14, v33
	;; [unrolled: 1-line block ×3, first 2 shown]
	v_fmac_f32_e32 v18, 0xbf27a4f4, v13
	v_fma_f32 v30, 0x3ed4b147, v13, -v21
	v_fmac_f32_e32 v21, 0x3ed4b147, v13
	v_fma_f32 v33, 0xbe11bafb, v13, -v32
	v_fmac_f32_e32 v32, 0xbe11bafb, v13
	v_add_f32_e32 v19, v18, v24
	v_add_f32_e32 v13, v30, v20
	;; [unrolled: 1-line block ×5, first 2 shown]
	s_waitcnt lgkmcnt(0)
	s_barrier
	buffer_gl0_inv
	ds_write2_b32 v43, v31, v16 offset1:1
	ds_write2_b32 v43, v17, v12 offset0:2 offset1:3
	ds_write2_b32 v43, v13, v24 offset0:4 offset1:5
	;; [unrolled: 1-line block ×4, first 2 shown]
	ds_write_b32 v43, v15 offset:40
	s_waitcnt lgkmcnt(0)
	s_barrier
	buffer_gl0_inv
                                        ; implicit-def: $vgpr20
                                        ; implicit-def: $vgpr29
                                        ; implicit-def: $vgpr26
	s_and_saveexec_b32 s1, s0
	s_cbranch_execnz .LBB0_16
; %bb.14:
	s_or_b32 exec_lo, exec_lo, s1
	s_and_b32 s0, vcc_lo, s0
	s_and_saveexec_b32 s1, s0
	s_cbranch_execnz .LBB0_17
.LBB0_15:
	s_endpgm
.LBB0_16:
	v_add3_u32 v26, 0, v42, v41
	v_add3_u32 v31, 0, v41, v42
	ds_read2_b32 v[16:17], v26 offset0:11 offset1:22
	ds_read2_b32 v[12:13], v26 offset0:33 offset1:44
	;; [unrolled: 1-line block ×7, first 2 shown]
	ds_read_b32 v31, v31
	ds_read_b32 v26, v26 offset:660
	s_or_b32 exec_lo, exec_lo, s1
	s_and_b32 s0, vcc_lo, s0
	s_and_saveexec_b32 s1, s0
	s_cbranch_execz .LBB0_15
.LBB0_17:
	v_mul_u32_u24_e32 v32, 15, v39
	v_add_co_u32 v0, vcc_lo, s2, v0
	v_add_co_ci_u32_e32 v1, vcc_lo, s3, v1, vcc_lo
	v_lshlrev_b32_e32 v36, 3, v32
	v_add_co_u32 v0, vcc_lo, v0, v37
	v_add_co_ci_u32_e32 v1, vcc_lo, 0, v1, vcc_lo
	s_clause 0x4
	global_load_dwordx4 v[32:35], v36, s[8:9] offset:32
	global_load_dwordx4 v[41:44], v36, s[8:9] offset:96
	;; [unrolled: 1-line block ×3, first 2 shown]
	global_load_dwordx2 v[53:54], v36, s[8:9] offset:112
	global_load_dwordx4 v[49:52], v36, s[8:9]
	s_waitcnt vmcnt(4) lgkmcnt(6)
	v_mul_f32_e32 v39, v25, v35
	v_mul_f32_e32 v35, v23, v35
	;; [unrolled: 1-line block ×4, first 2 shown]
	s_waitcnt vmcnt(3) lgkmcnt(2)
	v_mul_f32_e32 v55, v30, v44
	v_fmac_f32_e32 v39, v23, v34
	v_fma_f32 v58, v25, v34, -v35
	v_fmac_f32_e32 v56, v22, v32
	v_fma_f32 v59, v24, v32, -v33
	s_clause 0x1
	global_load_dwordx4 v[32:35], v36, s[8:9] offset:16
	global_load_dwordx4 v[22:25], v36, s[8:9] offset:64
	v_mul_f32_e32 v57, v29, v42
	v_mul_f32_e32 v44, v28, v44
	v_mul_f32_e32 v42, v27, v42
	v_fmac_f32_e32 v55, v28, v43
	s_waitcnt vmcnt(2)
	v_mul_f32_e32 v37, v17, v52
	v_fmac_f32_e32 v57, v27, v41
	v_fma_f32 v43, v30, v43, -v44
	v_fma_f32 v41, v29, v41, -v42
	global_load_dwordx4 v[27:30], v36, s[8:9] offset:80
	v_mul_f32_e32 v36, v7, v52
	v_fmac_f32_e32 v37, v7, v51
	s_waitcnt lgkmcnt(0)
	v_mul_f32_e32 v7, v26, v54
	v_mul_f32_e32 v42, v6, v50
	;; [unrolled: 1-line block ×3, first 2 shown]
	v_fma_f32 v17, v17, v51, -v36
	v_mul_f32_e32 v50, v40, v54
	v_fmac_f32_e32 v7, v40, v53
	v_fma_f32 v16, v16, v49, -v42
	v_mul_f32_e32 v42, v9, v48
	v_fmac_f32_e32 v44, v6, v49
	;; [unrolled: 3-line block ×3, first 2 shown]
	v_sub_f32_e32 v7, v52, v7
	s_waitcnt vmcnt(2)
	v_mul_f32_e32 v6, v13, v35
	s_waitcnt vmcnt(1)
	v_mul_f32_e32 v36, v3, v25
	v_mul_f32_e32 v40, v2, v23
	;; [unrolled: 1-line block ×5, first 2 shown]
	v_fma_f32 v15, v15, v24, -v36
	v_fma_f32 v36, v14, v22, -v40
	v_mul_f32_e32 v14, v14, v23
	v_mul_f32_e32 v23, v8, v46
	s_waitcnt vmcnt(0)
	v_mul_f32_e32 v49, v21, v30
	v_mul_f32_e32 v50, v10, v28
	v_fmac_f32_e32 v6, v5, v34
	v_fmac_f32_e32 v33, v4, v32
	v_mul_f32_e32 v4, v5, v35
	v_mul_f32_e32 v5, v20, v28
	v_fma_f32 v28, v19, v47, -v42
	v_fma_f32 v18, v18, v45, -v23
	v_mul_f32_e32 v19, v19, v48
	v_mul_f32_e32 v23, v11, v30
	v_fmac_f32_e32 v49, v11, v29
	v_fmac_f32_e32 v25, v3, v24
	v_fma_f32 v3, v12, v32, -v51
	v_fma_f32 v11, v20, v27, -v50
	v_fmac_f32_e32 v5, v10, v27
	v_fmac_f32_e32 v14, v2, v22
	v_fma_f32 v2, v13, v34, -v4
	v_fma_f32 v4, v21, v29, -v23
	v_fmac_f32_e32 v19, v9, v47
	v_sub_f32_e32 v8, v17, v15
	v_sub_f32_e32 v9, v39, v55
	;; [unrolled: 1-line block ×17, first 2 shown]
	v_add_f32_e32 v26, v15, v13
	v_sub_f32_e32 v27, v11, v7
	v_sub_f32_e32 v28, v20, v21
	v_add_f32_e32 v29, v5, v22
	v_add_f32_e32 v30, v14, v23
	;; [unrolled: 1-line block ×3, first 2 shown]
	v_fma_f32 v31, v31, 2.0, -v10
	v_fma_f32 v2, v2, 2.0, -v4
	;; [unrolled: 1-line block ×16, first 2 shown]
	v_fmamk_f32 v35, v24, 0x3f3504f3, v25
	v_fmamk_f32 v12, v27, 0x3f3504f3, v28
	;; [unrolled: 1-line block ×4, first 2 shown]
	v_sub_f32_e32 v38, v31, v2
	v_sub_f32_e32 v2, v4, v9
	;; [unrolled: 1-line block ×8, first 2 shown]
	v_fma_f32 v23, v10, 2.0, -v25
	v_fma_f32 v8, v8, 2.0, -v24
	;; [unrolled: 1-line block ×8, first 2 shown]
	v_fmac_f32_e32 v35, 0xbf3504f3, v26
	v_fmac_f32_e32 v12, 0xbf3504f3, v29
	;; [unrolled: 1-line block ×4, first 2 shown]
	v_sub_f32_e32 v24, v38, v2
	v_sub_f32_e32 v26, v9, v7
	v_add_f32_e32 v27, v18, v21
	v_add_f32_e32 v29, v13, v6
	v_fmamk_f32 v39, v8, 0xbf3504f3, v23
	v_fmamk_f32 v40, v11, 0xbf3504f3, v15
	;; [unrolled: 1-line block ×4, first 2 shown]
	v_fma_f32 v31, v31, 2.0, -v38
	v_fma_f32 v13, v17, 2.0, -v13
	;; [unrolled: 1-line block ×8, first 2 shown]
	v_fmamk_f32 v3, v12, 0x3f6c835e, v35
	v_fmamk_f32 v5, v26, 0x3f3504f3, v24
	;; [unrolled: 1-line block ×3, first 2 shown]
	v_fmac_f32_e32 v39, 0xbf3504f3, v10
	v_fmac_f32_e32 v40, 0xbf3504f3, v20
	;; [unrolled: 1-line block ×4, first 2 shown]
	v_sub_f32_e32 v20, v31, v13
	v_sub_f32_e32 v34, v17, v7
	;; [unrolled: 1-line block ×4, first 2 shown]
	v_fma_f32 v38, v38, 2.0, -v24
	v_fma_f32 v43, v9, 2.0, -v26
	v_fmamk_f32 v2, v36, 0x3f6c835e, v37
	v_fma_f32 v25, v25, 2.0, -v35
	v_fma_f32 v28, v28, 2.0, -v12
	;; [unrolled: 1-line block ×6, first 2 shown]
	v_fmac_f32_e32 v3, 0xbec3ef15, v36
	v_fmac_f32_e32 v5, 0xbf3504f3, v27
	;; [unrolled: 1-line block ×3, first 2 shown]
	v_sub_f32_e32 v9, v20, v34
	v_fmamk_f32 v13, v43, 0xbf3504f3, v38
	v_fma_f32 v36, v23, 2.0, -v39
	v_fma_f32 v26, v15, 2.0, -v40
	;; [unrolled: 1-line block ×8, first 2 shown]
	v_fmac_f32_e32 v2, 0x3ec3ef15, v12
	v_fmamk_f32 v11, v28, 0xbec3ef15, v25
	v_fmamk_f32 v12, v21, 0xbf3504f3, v44
	;; [unrolled: 1-line block ×5, first 2 shown]
	v_add_f32_e32 v8, v33, v18
	v_fma_f32 v19, v20, 2.0, -v9
	v_fmac_f32_e32 v13, 0xbf3504f3, v21
	v_fmamk_f32 v21, v26, 0xbf6c835e, v36
	v_fmamk_f32 v20, v27, 0xbf6c835e, v45
	v_sub_f32_e32 v23, v31, v23
	v_sub_f32_e32 v22, v46, v22
	v_fmac_f32_e32 v11, 0xbf6c835e, v30
	v_fmac_f32_e32 v12, 0x3f3504f3, v43
	;; [unrolled: 1-line block ×5, first 2 shown]
	v_fma_f32 v18, v33, 2.0, -v8
	v_fmac_f32_e32 v21, 0xbec3ef15, v27
	v_fmac_f32_e32 v20, 0x3ec3ef15, v26
	v_fma_f32 v27, v31, 2.0, -v23
	v_fma_f32 v26, v46, 2.0, -v22
	;; [unrolled: 1-line block ×4, first 2 shown]
	global_store_dwordx2 v[0:1], v[8:9], off offset:1056
	global_store_dwordx2 v[0:1], v[4:5], off offset:1232
	v_fma_f32 v9, v25, 2.0, -v11
	v_fma_f32 v25, v38, 2.0, -v13
	;; [unrolled: 1-line block ×8, first 2 shown]
	global_store_dwordx2 v[0:1], v[18:19], off offset:352
	global_store_dwordx2 v[0:1], v[16:17], off offset:528
	;; [unrolled: 1-line block ×7, first 2 shown]
	v_fma_f32 v7, v36, 2.0, -v21
	v_fma_f32 v6, v45, 2.0, -v20
	global_store_dwordx2 v[0:1], v[26:27], off
	global_store_dwordx2 v[0:1], v[24:25], off offset:176
	global_store_dwordx2 v[0:1], v[8:9], off offset:264
	;; [unrolled: 1-line block ×6, first 2 shown]
	s_endpgm
	.section	.rodata,"a",@progbits
	.p2align	6, 0x0
	.amdhsa_kernel fft_rtc_back_len176_factors_11_16_wgs_64_tpt_16_halfLds_sp_ip_CI_unitstride_sbrr_dirReg
		.amdhsa_group_segment_fixed_size 0
		.amdhsa_private_segment_fixed_size 0
		.amdhsa_kernarg_size 88
		.amdhsa_user_sgpr_count 6
		.amdhsa_user_sgpr_private_segment_buffer 1
		.amdhsa_user_sgpr_dispatch_ptr 0
		.amdhsa_user_sgpr_queue_ptr 0
		.amdhsa_user_sgpr_kernarg_segment_ptr 1
		.amdhsa_user_sgpr_dispatch_id 0
		.amdhsa_user_sgpr_flat_scratch_init 0
		.amdhsa_user_sgpr_private_segment_size 0
		.amdhsa_wavefront_size32 1
		.amdhsa_uses_dynamic_stack 0
		.amdhsa_system_sgpr_private_segment_wavefront_offset 0
		.amdhsa_system_sgpr_workgroup_id_x 1
		.amdhsa_system_sgpr_workgroup_id_y 0
		.amdhsa_system_sgpr_workgroup_id_z 0
		.amdhsa_system_sgpr_workgroup_info 0
		.amdhsa_system_vgpr_workitem_id 0
		.amdhsa_next_free_vgpr 60
		.amdhsa_next_free_sgpr 21
		.amdhsa_reserve_vcc 1
		.amdhsa_reserve_flat_scratch 0
		.amdhsa_float_round_mode_32 0
		.amdhsa_float_round_mode_16_64 0
		.amdhsa_float_denorm_mode_32 3
		.amdhsa_float_denorm_mode_16_64 3
		.amdhsa_dx10_clamp 1
		.amdhsa_ieee_mode 1
		.amdhsa_fp16_overflow 0
		.amdhsa_workgroup_processor_mode 1
		.amdhsa_memory_ordered 1
		.amdhsa_forward_progress 0
		.amdhsa_shared_vgpr_count 0
		.amdhsa_exception_fp_ieee_invalid_op 0
		.amdhsa_exception_fp_denorm_src 0
		.amdhsa_exception_fp_ieee_div_zero 0
		.amdhsa_exception_fp_ieee_overflow 0
		.amdhsa_exception_fp_ieee_underflow 0
		.amdhsa_exception_fp_ieee_inexact 0
		.amdhsa_exception_int_div_zero 0
	.end_amdhsa_kernel
	.text
.Lfunc_end0:
	.size	fft_rtc_back_len176_factors_11_16_wgs_64_tpt_16_halfLds_sp_ip_CI_unitstride_sbrr_dirReg, .Lfunc_end0-fft_rtc_back_len176_factors_11_16_wgs_64_tpt_16_halfLds_sp_ip_CI_unitstride_sbrr_dirReg
                                        ; -- End function
	.section	.AMDGPU.csdata,"",@progbits
; Kernel info:
; codeLenInByte = 5224
; NumSgprs: 23
; NumVgprs: 60
; ScratchSize: 0
; MemoryBound: 0
; FloatMode: 240
; IeeeMode: 1
; LDSByteSize: 0 bytes/workgroup (compile time only)
; SGPRBlocks: 2
; VGPRBlocks: 7
; NumSGPRsForWavesPerEU: 23
; NumVGPRsForWavesPerEU: 60
; Occupancy: 16
; WaveLimiterHint : 1
; COMPUTE_PGM_RSRC2:SCRATCH_EN: 0
; COMPUTE_PGM_RSRC2:USER_SGPR: 6
; COMPUTE_PGM_RSRC2:TRAP_HANDLER: 0
; COMPUTE_PGM_RSRC2:TGID_X_EN: 1
; COMPUTE_PGM_RSRC2:TGID_Y_EN: 0
; COMPUTE_PGM_RSRC2:TGID_Z_EN: 0
; COMPUTE_PGM_RSRC2:TIDIG_COMP_CNT: 0
	.text
	.p2alignl 6, 3214868480
	.fill 48, 4, 3214868480
	.type	__hip_cuid_e2947097487c7fdb,@object ; @__hip_cuid_e2947097487c7fdb
	.section	.bss,"aw",@nobits
	.globl	__hip_cuid_e2947097487c7fdb
__hip_cuid_e2947097487c7fdb:
	.byte	0                               ; 0x0
	.size	__hip_cuid_e2947097487c7fdb, 1

	.ident	"AMD clang version 19.0.0git (https://github.com/RadeonOpenCompute/llvm-project roc-6.4.0 25133 c7fe45cf4b819c5991fe208aaa96edf142730f1d)"
	.section	".note.GNU-stack","",@progbits
	.addrsig
	.addrsig_sym __hip_cuid_e2947097487c7fdb
	.amdgpu_metadata
---
amdhsa.kernels:
  - .args:
      - .actual_access:  read_only
        .address_space:  global
        .offset:         0
        .size:           8
        .value_kind:     global_buffer
      - .offset:         8
        .size:           8
        .value_kind:     by_value
      - .actual_access:  read_only
        .address_space:  global
        .offset:         16
        .size:           8
        .value_kind:     global_buffer
      - .actual_access:  read_only
        .address_space:  global
        .offset:         24
        .size:           8
        .value_kind:     global_buffer
      - .offset:         32
        .size:           8
        .value_kind:     by_value
      - .actual_access:  read_only
        .address_space:  global
        .offset:         40
        .size:           8
        .value_kind:     global_buffer
      - .actual_access:  read_only
        .address_space:  global
        .offset:         48
        .size:           8
        .value_kind:     global_buffer
      - .offset:         56
        .size:           4
        .value_kind:     by_value
      - .actual_access:  read_only
        .address_space:  global
        .offset:         64
        .size:           8
        .value_kind:     global_buffer
      - .actual_access:  read_only
        .address_space:  global
        .offset:         72
        .size:           8
        .value_kind:     global_buffer
      - .address_space:  global
        .offset:         80
        .size:           8
        .value_kind:     global_buffer
    .group_segment_fixed_size: 0
    .kernarg_segment_align: 8
    .kernarg_segment_size: 88
    .language:       OpenCL C
    .language_version:
      - 2
      - 0
    .max_flat_workgroup_size: 64
    .name:           fft_rtc_back_len176_factors_11_16_wgs_64_tpt_16_halfLds_sp_ip_CI_unitstride_sbrr_dirReg
    .private_segment_fixed_size: 0
    .sgpr_count:     23
    .sgpr_spill_count: 0
    .symbol:         fft_rtc_back_len176_factors_11_16_wgs_64_tpt_16_halfLds_sp_ip_CI_unitstride_sbrr_dirReg.kd
    .uniform_work_group_size: 1
    .uses_dynamic_stack: false
    .vgpr_count:     60
    .vgpr_spill_count: 0
    .wavefront_size: 32
    .workgroup_processor_mode: 1
amdhsa.target:   amdgcn-amd-amdhsa--gfx1030
amdhsa.version:
  - 1
  - 2
...

	.end_amdgpu_metadata
